;; amdgpu-corpus repo=ROCm/rocFFT kind=compiled arch=gfx1201 opt=O3
	.text
	.amdgcn_target "amdgcn-amd-amdhsa--gfx1201"
	.amdhsa_code_object_version 6
	.protected	fft_rtc_fwd_len484_factors_4_11_11_wgs_44_tpt_44_sp_op_CI_CI_unitstride_sbrr_dirReg ; -- Begin function fft_rtc_fwd_len484_factors_4_11_11_wgs_44_tpt_44_sp_op_CI_CI_unitstride_sbrr_dirReg
	.globl	fft_rtc_fwd_len484_factors_4_11_11_wgs_44_tpt_44_sp_op_CI_CI_unitstride_sbrr_dirReg
	.p2align	8
	.type	fft_rtc_fwd_len484_factors_4_11_11_wgs_44_tpt_44_sp_op_CI_CI_unitstride_sbrr_dirReg,@function
fft_rtc_fwd_len484_factors_4_11_11_wgs_44_tpt_44_sp_op_CI_CI_unitstride_sbrr_dirReg: ; @fft_rtc_fwd_len484_factors_4_11_11_wgs_44_tpt_44_sp_op_CI_CI_unitstride_sbrr_dirReg
; %bb.0:
	s_clause 0x2
	s_load_b128 s[8:11], s[0:1], 0x0
	s_load_b128 s[4:7], s[0:1], 0x58
	;; [unrolled: 1-line block ×3, first 2 shown]
	v_mul_u32_u24_e32 v1, 0x5d2, v0
	v_mov_b32_e32 v3, 0
	s_delay_alu instid0(VALU_DEP_2) | instskip(NEXT) | instid1(VALU_DEP_1)
	v_lshrrev_b32_e32 v1, 16, v1
	v_add_nc_u32_e32 v5, ttmp9, v1
	v_mov_b32_e32 v1, 0
	v_mov_b32_e32 v2, 0
	;; [unrolled: 1-line block ×3, first 2 shown]
	s_wait_kmcnt 0x0
	v_cmp_lt_u64_e64 s2, s[10:11], 2
	s_delay_alu instid0(VALU_DEP_1)
	s_and_b32 vcc_lo, exec_lo, s2
	s_cbranch_vccnz .LBB0_8
; %bb.1:
	s_load_b64 s[2:3], s[0:1], 0x10
	v_mov_b32_e32 v1, 0
	v_mov_b32_e32 v2, 0
	s_add_nc_u64 s[16:17], s[14:15], 8
	s_add_nc_u64 s[18:19], s[12:13], 8
	s_mov_b64 s[20:21], 1
	s_delay_alu instid0(VALU_DEP_1)
	v_dual_mov_b32 v37, v2 :: v_dual_mov_b32 v36, v1
	s_wait_kmcnt 0x0
	s_add_nc_u64 s[22:23], s[2:3], 8
	s_mov_b32 s3, 0
.LBB0_2:                                ; =>This Inner Loop Header: Depth=1
	s_load_b64 s[24:25], s[22:23], 0x0
                                        ; implicit-def: $vgpr39_vgpr40
	s_mov_b32 s2, exec_lo
	s_wait_kmcnt 0x0
	v_or_b32_e32 v4, s25, v6
	s_delay_alu instid0(VALU_DEP_1)
	v_cmpx_ne_u64_e32 0, v[3:4]
	s_wait_alu 0xfffe
	s_xor_b32 s26, exec_lo, s2
	s_cbranch_execz .LBB0_4
; %bb.3:                                ;   in Loop: Header=BB0_2 Depth=1
	s_cvt_f32_u32 s2, s24
	s_cvt_f32_u32 s27, s25
	s_sub_nc_u64 s[30:31], 0, s[24:25]
	s_wait_alu 0xfffe
	s_delay_alu instid0(SALU_CYCLE_1) | instskip(SKIP_1) | instid1(SALU_CYCLE_2)
	s_fmamk_f32 s2, s27, 0x4f800000, s2
	s_wait_alu 0xfffe
	v_s_rcp_f32 s2, s2
	s_delay_alu instid0(TRANS32_DEP_1) | instskip(SKIP_1) | instid1(SALU_CYCLE_2)
	s_mul_f32 s2, s2, 0x5f7ffffc
	s_wait_alu 0xfffe
	s_mul_f32 s27, s2, 0x2f800000
	s_wait_alu 0xfffe
	s_delay_alu instid0(SALU_CYCLE_2) | instskip(SKIP_1) | instid1(SALU_CYCLE_2)
	s_trunc_f32 s27, s27
	s_wait_alu 0xfffe
	s_fmamk_f32 s2, s27, 0xcf800000, s2
	s_cvt_u32_f32 s29, s27
	s_wait_alu 0xfffe
	s_delay_alu instid0(SALU_CYCLE_1) | instskip(SKIP_1) | instid1(SALU_CYCLE_2)
	s_cvt_u32_f32 s28, s2
	s_wait_alu 0xfffe
	s_mul_u64 s[34:35], s[30:31], s[28:29]
	s_wait_alu 0xfffe
	s_mul_hi_u32 s37, s28, s35
	s_mul_i32 s36, s28, s35
	s_mul_hi_u32 s2, s28, s34
	s_mul_i32 s33, s29, s34
	s_wait_alu 0xfffe
	s_add_nc_u64 s[36:37], s[2:3], s[36:37]
	s_mul_hi_u32 s27, s29, s34
	s_mul_hi_u32 s38, s29, s35
	s_add_co_u32 s2, s36, s33
	s_wait_alu 0xfffe
	s_add_co_ci_u32 s2, s37, s27
	s_mul_i32 s34, s29, s35
	s_add_co_ci_u32 s35, s38, 0
	s_wait_alu 0xfffe
	s_add_nc_u64 s[34:35], s[2:3], s[34:35]
	s_wait_alu 0xfffe
	v_add_co_u32 v4, s2, s28, s34
	s_delay_alu instid0(VALU_DEP_1) | instskip(SKIP_1) | instid1(VALU_DEP_1)
	s_cmp_lg_u32 s2, 0
	s_add_co_ci_u32 s29, s29, s35
	v_readfirstlane_b32 s28, v4
	s_wait_alu 0xfffe
	s_delay_alu instid0(VALU_DEP_1)
	s_mul_u64 s[30:31], s[30:31], s[28:29]
	s_wait_alu 0xfffe
	s_mul_hi_u32 s35, s28, s31
	s_mul_i32 s34, s28, s31
	s_mul_hi_u32 s2, s28, s30
	s_mul_i32 s33, s29, s30
	s_wait_alu 0xfffe
	s_add_nc_u64 s[34:35], s[2:3], s[34:35]
	s_mul_hi_u32 s27, s29, s30
	s_mul_hi_u32 s28, s29, s31
	s_wait_alu 0xfffe
	s_add_co_u32 s2, s34, s33
	s_add_co_ci_u32 s2, s35, s27
	s_mul_i32 s30, s29, s31
	s_add_co_ci_u32 s31, s28, 0
	s_wait_alu 0xfffe
	s_add_nc_u64 s[30:31], s[2:3], s[30:31]
	s_wait_alu 0xfffe
	v_add_co_u32 v4, s2, v4, s30
	s_delay_alu instid0(VALU_DEP_1) | instskip(SKIP_1) | instid1(VALU_DEP_1)
	s_cmp_lg_u32 s2, 0
	s_add_co_ci_u32 s2, s29, s31
	v_mul_hi_u32 v13, v5, v4
	s_wait_alu 0xfffe
	v_mad_co_u64_u32 v[7:8], null, v5, s2, 0
	v_mad_co_u64_u32 v[9:10], null, v6, v4, 0
	;; [unrolled: 1-line block ×3, first 2 shown]
	s_delay_alu instid0(VALU_DEP_3) | instskip(SKIP_1) | instid1(VALU_DEP_4)
	v_add_co_u32 v4, vcc_lo, v13, v7
	s_wait_alu 0xfffd
	v_add_co_ci_u32_e32 v7, vcc_lo, 0, v8, vcc_lo
	s_delay_alu instid0(VALU_DEP_2) | instskip(SKIP_1) | instid1(VALU_DEP_2)
	v_add_co_u32 v4, vcc_lo, v4, v9
	s_wait_alu 0xfffd
	v_add_co_ci_u32_e32 v4, vcc_lo, v7, v10, vcc_lo
	s_wait_alu 0xfffd
	v_add_co_ci_u32_e32 v7, vcc_lo, 0, v12, vcc_lo
	s_delay_alu instid0(VALU_DEP_2) | instskip(SKIP_1) | instid1(VALU_DEP_2)
	v_add_co_u32 v4, vcc_lo, v4, v11
	s_wait_alu 0xfffd
	v_add_co_ci_u32_e32 v9, vcc_lo, 0, v7, vcc_lo
	s_delay_alu instid0(VALU_DEP_2) | instskip(SKIP_1) | instid1(VALU_DEP_3)
	v_mul_lo_u32 v10, s25, v4
	v_mad_co_u64_u32 v[7:8], null, s24, v4, 0
	v_mul_lo_u32 v11, s24, v9
	s_delay_alu instid0(VALU_DEP_2) | instskip(NEXT) | instid1(VALU_DEP_2)
	v_sub_co_u32 v7, vcc_lo, v5, v7
	v_add3_u32 v8, v8, v11, v10
	s_delay_alu instid0(VALU_DEP_1) | instskip(SKIP_1) | instid1(VALU_DEP_1)
	v_sub_nc_u32_e32 v10, v6, v8
	s_wait_alu 0xfffd
	v_subrev_co_ci_u32_e64 v10, s2, s25, v10, vcc_lo
	v_add_co_u32 v11, s2, v4, 2
	s_wait_alu 0xf1ff
	v_add_co_ci_u32_e64 v12, s2, 0, v9, s2
	v_sub_co_u32 v13, s2, v7, s24
	v_sub_co_ci_u32_e32 v8, vcc_lo, v6, v8, vcc_lo
	s_wait_alu 0xf1ff
	v_subrev_co_ci_u32_e64 v10, s2, 0, v10, s2
	s_delay_alu instid0(VALU_DEP_3) | instskip(NEXT) | instid1(VALU_DEP_3)
	v_cmp_le_u32_e32 vcc_lo, s24, v13
	v_cmp_eq_u32_e64 s2, s25, v8
	s_wait_alu 0xfffd
	v_cndmask_b32_e64 v13, 0, -1, vcc_lo
	v_cmp_le_u32_e32 vcc_lo, s25, v10
	s_wait_alu 0xfffd
	v_cndmask_b32_e64 v14, 0, -1, vcc_lo
	v_cmp_le_u32_e32 vcc_lo, s24, v7
	;; [unrolled: 3-line block ×3, first 2 shown]
	s_wait_alu 0xfffd
	v_cndmask_b32_e64 v15, 0, -1, vcc_lo
	v_cmp_eq_u32_e32 vcc_lo, s25, v10
	s_wait_alu 0xf1ff
	s_delay_alu instid0(VALU_DEP_2)
	v_cndmask_b32_e64 v7, v15, v7, s2
	s_wait_alu 0xfffd
	v_cndmask_b32_e32 v10, v14, v13, vcc_lo
	v_add_co_u32 v13, vcc_lo, v4, 1
	s_wait_alu 0xfffd
	v_add_co_ci_u32_e32 v14, vcc_lo, 0, v9, vcc_lo
	s_delay_alu instid0(VALU_DEP_3) | instskip(SKIP_2) | instid1(VALU_DEP_3)
	v_cmp_ne_u32_e32 vcc_lo, 0, v10
	s_wait_alu 0xfffd
	v_cndmask_b32_e32 v10, v13, v11, vcc_lo
	v_cndmask_b32_e32 v8, v14, v12, vcc_lo
	v_cmp_ne_u32_e32 vcc_lo, 0, v7
	s_wait_alu 0xfffd
	s_delay_alu instid0(VALU_DEP_2)
	v_dual_cndmask_b32 v39, v4, v10 :: v_dual_cndmask_b32 v40, v9, v8
.LBB0_4:                                ;   in Loop: Header=BB0_2 Depth=1
	s_wait_alu 0xfffe
	s_and_not1_saveexec_b32 s2, s26
	s_cbranch_execz .LBB0_6
; %bb.5:                                ;   in Loop: Header=BB0_2 Depth=1
	v_cvt_f32_u32_e32 v4, s24
	s_sub_co_i32 s26, 0, s24
	v_mov_b32_e32 v40, v3
	s_delay_alu instid0(VALU_DEP_2) | instskip(NEXT) | instid1(TRANS32_DEP_1)
	v_rcp_iflag_f32_e32 v4, v4
	v_mul_f32_e32 v4, 0x4f7ffffe, v4
	s_delay_alu instid0(VALU_DEP_1) | instskip(SKIP_1) | instid1(VALU_DEP_1)
	v_cvt_u32_f32_e32 v4, v4
	s_wait_alu 0xfffe
	v_mul_lo_u32 v7, s26, v4
	s_delay_alu instid0(VALU_DEP_1) | instskip(NEXT) | instid1(VALU_DEP_1)
	v_mul_hi_u32 v7, v4, v7
	v_add_nc_u32_e32 v4, v4, v7
	s_delay_alu instid0(VALU_DEP_1) | instskip(NEXT) | instid1(VALU_DEP_1)
	v_mul_hi_u32 v4, v5, v4
	v_mul_lo_u32 v7, v4, s24
	v_add_nc_u32_e32 v8, 1, v4
	s_delay_alu instid0(VALU_DEP_2) | instskip(NEXT) | instid1(VALU_DEP_1)
	v_sub_nc_u32_e32 v7, v5, v7
	v_subrev_nc_u32_e32 v9, s24, v7
	v_cmp_le_u32_e32 vcc_lo, s24, v7
	s_wait_alu 0xfffd
	s_delay_alu instid0(VALU_DEP_2) | instskip(NEXT) | instid1(VALU_DEP_1)
	v_dual_cndmask_b32 v7, v7, v9 :: v_dual_cndmask_b32 v4, v4, v8
	v_cmp_le_u32_e32 vcc_lo, s24, v7
	s_delay_alu instid0(VALU_DEP_2) | instskip(SKIP_1) | instid1(VALU_DEP_1)
	v_add_nc_u32_e32 v8, 1, v4
	s_wait_alu 0xfffd
	v_cndmask_b32_e32 v39, v4, v8, vcc_lo
.LBB0_6:                                ;   in Loop: Header=BB0_2 Depth=1
	s_wait_alu 0xfffe
	s_or_b32 exec_lo, exec_lo, s2
	v_mul_lo_u32 v4, v40, s24
	s_delay_alu instid0(VALU_DEP_2)
	v_mul_lo_u32 v9, v39, s25
	s_load_b64 s[26:27], s[18:19], 0x0
	v_mad_co_u64_u32 v[7:8], null, v39, s24, 0
	s_load_b64 s[24:25], s[16:17], 0x0
	s_add_nc_u64 s[20:21], s[20:21], 1
	s_add_nc_u64 s[16:17], s[16:17], 8
	s_wait_alu 0xfffe
	v_cmp_ge_u64_e64 s2, s[20:21], s[10:11]
	s_add_nc_u64 s[18:19], s[18:19], 8
	s_add_nc_u64 s[22:23], s[22:23], 8
	v_add3_u32 v4, v8, v9, v4
	v_sub_co_u32 v5, vcc_lo, v5, v7
	s_wait_alu 0xfffd
	s_delay_alu instid0(VALU_DEP_2) | instskip(SKIP_2) | instid1(VALU_DEP_1)
	v_sub_co_ci_u32_e32 v4, vcc_lo, v6, v4, vcc_lo
	s_and_b32 vcc_lo, exec_lo, s2
	s_wait_kmcnt 0x0
	v_mul_lo_u32 v6, s26, v4
	v_mul_lo_u32 v7, s27, v5
	v_mad_co_u64_u32 v[1:2], null, s26, v5, v[1:2]
	v_mul_lo_u32 v4, s24, v4
	v_mul_lo_u32 v8, s25, v5
	v_mad_co_u64_u32 v[36:37], null, s24, v5, v[36:37]
	s_delay_alu instid0(VALU_DEP_4) | instskip(NEXT) | instid1(VALU_DEP_2)
	v_add3_u32 v2, v7, v2, v6
	v_add3_u32 v37, v8, v37, v4
	s_wait_alu 0xfffe
	s_cbranch_vccnz .LBB0_9
; %bb.7:                                ;   in Loop: Header=BB0_2 Depth=1
	v_dual_mov_b32 v5, v39 :: v_dual_mov_b32 v6, v40
	s_branch .LBB0_2
.LBB0_8:
	v_dual_mov_b32 v37, v2 :: v_dual_mov_b32 v36, v1
	v_dual_mov_b32 v40, v6 :: v_dual_mov_b32 v39, v5
.LBB0_9:
	s_load_b64 s[0:1], s[0:1], 0x28
	v_mul_hi_u32 v3, 0x5d1745e, v0
	s_lshl_b64 s[10:11], s[10:11], 3
                                        ; implicit-def: $vgpr38
                                        ; implicit-def: $vgpr24
                                        ; implicit-def: $vgpr25
	s_wait_kmcnt 0x0
	v_cmp_gt_u64_e32 vcc_lo, s[0:1], v[39:40]
	v_cmp_le_u64_e64 s0, s[0:1], v[39:40]
	s_delay_alu instid0(VALU_DEP_1)
	s_and_saveexec_b32 s1, s0
	s_wait_alu 0xfffe
	s_xor_b32 s0, exec_lo, s1
; %bb.10:
	v_mul_u32_u24_e32 v1, 44, v3
                                        ; implicit-def: $vgpr3
	s_delay_alu instid0(VALU_DEP_1) | instskip(NEXT) | instid1(VALU_DEP_1)
	v_sub_nc_u32_e32 v38, v0, v1
                                        ; implicit-def: $vgpr0
                                        ; implicit-def: $vgpr1_vgpr2
	v_add_nc_u32_e32 v24, 44, v38
	v_add_nc_u32_e32 v25, 0x58, v38
; %bb.11:
	s_wait_alu 0xfffe
	s_or_saveexec_b32 s1, s0
	s_add_nc_u64 s[2:3], s[14:15], s[10:11]
	s_wait_alu 0xfffe
	s_xor_b32 exec_lo, exec_lo, s1
	s_cbranch_execz .LBB0_13
; %bb.12:
	s_add_nc_u64 s[10:11], s[12:13], s[10:11]
	v_lshlrev_b64_e32 v[1:2], 3, v[1:2]
	s_load_b64 s[10:11], s[10:11], 0x0
	s_wait_kmcnt 0x0
	v_mul_lo_u32 v6, s11, v39
	v_mul_lo_u32 v7, s10, v40
	v_mad_co_u64_u32 v[4:5], null, s10, v39, 0
	s_delay_alu instid0(VALU_DEP_1) | instskip(SKIP_1) | instid1(VALU_DEP_2)
	v_add3_u32 v5, v5, v7, v6
	v_mul_u32_u24_e32 v6, 44, v3
	v_lshlrev_b64_e32 v[3:4], 3, v[4:5]
	s_delay_alu instid0(VALU_DEP_2) | instskip(NEXT) | instid1(VALU_DEP_1)
	v_sub_nc_u32_e32 v38, v0, v6
	v_lshlrev_b32_e32 v22, 3, v38
	s_delay_alu instid0(VALU_DEP_3) | instskip(SKIP_1) | instid1(VALU_DEP_4)
	v_add_co_u32 v0, s0, s4, v3
	s_wait_alu 0xf1ff
	v_add_co_ci_u32_e64 v3, s0, s5, v4, s0
	v_add_nc_u32_e32 v24, 44, v38
	s_delay_alu instid0(VALU_DEP_3) | instskip(SKIP_1) | instid1(VALU_DEP_3)
	v_add_co_u32 v0, s0, v0, v1
	s_wait_alu 0xf1ff
	v_add_co_ci_u32_e64 v1, s0, v3, v2, s0
	v_add_nc_u32_e32 v25, 0x58, v38
	s_delay_alu instid0(VALU_DEP_3) | instskip(SKIP_1) | instid1(VALU_DEP_3)
	v_add_co_u32 v0, s0, v0, v22
	s_wait_alu 0xf1ff
	v_add_co_ci_u32_e64 v1, s0, 0, v1, s0
	s_clause 0xa
	global_load_b64 v[2:3], v[0:1], off
	global_load_b64 v[4:5], v[0:1], off offset:352
	global_load_b64 v[6:7], v[0:1], off offset:704
	;; [unrolled: 1-line block ×10, first 2 shown]
	v_add_nc_u32_e32 v22, 0, v22
	s_delay_alu instid0(VALU_DEP_1)
	v_add_nc_u32_e32 v23, 0x800, v22
	s_wait_loadcnt 0x9
	ds_store_2addr_b64 v22, v[2:3], v[4:5] offset1:44
	s_wait_loadcnt 0x7
	ds_store_2addr_b64 v22, v[6:7], v[8:9] offset0:88 offset1:132
	s_wait_loadcnt 0x5
	ds_store_2addr_b64 v22, v[10:11], v[12:13] offset0:176 offset1:220
	;; [unrolled: 2-line block ×4, first 2 shown]
	s_wait_loadcnt 0x0
	ds_store_b64 v22, v[0:1] offset:3520
.LBB0_13:
	s_or_b32 exec_lo, exec_lo, s1
	v_lshl_add_u32 v47, v38, 3, 0
	s_load_b64 s[2:3], s[2:3], 0x0
	global_wb scope:SCOPE_SE
	s_wait_dscnt 0x0
	s_wait_kmcnt 0x0
	s_barrier_signal -1
	s_barrier_wait -1
	v_add_nc_u32_e32 v0, 0x400, v47
	v_add_nc_u32_e32 v48, 0x800, v47
	global_inv scope:SCOPE_SE
	s_mov_b32 s1, exec_lo
	ds_load_2addr_b64 v[16:19], v47 offset1:44
	ds_load_2addr_b64 v[20:23], v0 offset0:114 offset1:158
	ds_load_2addr_b64 v[0:3], v47 offset0:88 offset1:121
	;; [unrolled: 1-line block ×5, first 2 shown]
	global_wb scope:SCOPE_SE
	s_wait_dscnt 0x0
	s_barrier_signal -1
	s_barrier_wait -1
	global_inv scope:SCOPE_SE
	v_dual_sub_f32 v21, v17, v21 :: v_dual_sub_f32 v20, v16, v20
	v_sub_f32_e32 v23, v19, v23
	v_sub_f32_e32 v13, v5, v13
	s_delay_alu instid0(VALU_DEP_3)
	v_fma_f32 v28, v17, 2.0, -v21
	v_sub_f32_e32 v26, v2, v10
	v_sub_f32_e32 v10, v3, v11
	v_fma_f32 v29, v19, 2.0, -v23
	v_fma_f32 v5, v5, 2.0, -v13
	v_sub_f32_e32 v22, v18, v22
	v_fma_f32 v27, v16, 2.0, -v20
	v_fma_f32 v16, v3, 2.0, -v10
	s_delay_alu instid0(VALU_DEP_4) | instskip(NEXT) | instid1(VALU_DEP_4)
	v_dual_sub_f32 v19, v29, v5 :: v_dual_sub_f32 v12, v4, v12
	v_sub_f32_e32 v3, v22, v13
	s_delay_alu instid0(VALU_DEP_3)
	v_sub_f32_e32 v13, v28, v16
	v_fma_f32 v2, v2, 2.0, -v26
	v_add_f32_e32 v11, v21, v26
	v_fma_f32 v26, v18, 2.0, -v22
	v_fma_f32 v18, v4, 2.0, -v12
	v_sub_f32_e32 v10, v20, v10
	v_add_f32_e32 v4, v23, v12
	v_sub_f32_e32 v12, v27, v2
	v_fma_f32 v17, v21, 2.0, -v11
	v_sub_f32_e32 v18, v26, v18
	v_fma_f32 v16, v20, 2.0, -v10
	v_fma_f32 v20, v22, 2.0, -v3
	;; [unrolled: 1-line block ×5, first 2 shown]
	v_mad_u32_u24 v5, v38, 24, v47
	v_lshl_add_u32 v2, v24, 5, 0
	v_fma_f32 v26, v26, 2.0, -v18
	v_fma_f32 v27, v29, 2.0, -v19
	ds_store_2addr_b64 v5, v[22:23], v[16:17] offset1:1
	ds_store_2addr_b64 v5, v[12:13], v[10:11] offset0:2 offset1:3
	ds_store_2addr_b64 v2, v[26:27], v[20:21] offset1:1
	ds_store_2addr_b64 v2, v[18:19], v[3:4] offset0:2 offset1:3
	v_cmpx_gt_u32_e32 33, v38
	s_cbranch_execz .LBB0_15
; %bb.14:
	v_dual_sub_f32 v5, v1, v9 :: v_dual_sub_f32 v8, v0, v8
	v_dual_sub_f32 v3, v7, v15 :: v_dual_sub_f32 v4, v6, v14
	v_lshl_add_u32 v11, v25, 5, 0
	s_delay_alu instid0(VALU_DEP_3) | instskip(NEXT) | instid1(VALU_DEP_4)
	v_fma_f32 v9, v1, 2.0, -v5
	v_fma_f32 v10, v0, 2.0, -v8
	s_delay_alu instid0(VALU_DEP_4) | instskip(SKIP_2) | instid1(VALU_DEP_2)
	v_fma_f32 v7, v7, 2.0, -v3
	v_fma_f32 v6, v6, 2.0, -v4
	v_dual_add_f32 v1, v5, v4 :: v_dual_sub_f32 v0, v8, v3
	v_dual_sub_f32 v4, v9, v7 :: v_dual_sub_f32 v3, v10, v6
	s_delay_alu instid0(VALU_DEP_2) | instskip(NEXT) | instid1(VALU_DEP_3)
	v_fma_f32 v6, v5, 2.0, -v1
	v_fma_f32 v5, v8, 2.0, -v0
	s_delay_alu instid0(VALU_DEP_3) | instskip(NEXT) | instid1(VALU_DEP_4)
	v_fma_f32 v8, v9, 2.0, -v4
	v_fma_f32 v7, v10, 2.0, -v3
	ds_store_2addr_b64 v11, v[7:8], v[5:6] offset1:1
	ds_store_2addr_b64 v11, v[3:4], v[0:1] offset0:2 offset1:3
.LBB0_15:
	s_wait_alu 0xfffe
	s_or_b32 exec_lo, exec_lo, s1
	v_and_b32_e32 v34, 3, v38
	global_wb scope:SCOPE_SE
	s_wait_dscnt 0x0
	s_barrier_signal -1
	s_barrier_wait -1
	global_inv scope:SCOPE_SE
	v_mul_u32_u24_e32 v0, 10, v34
	v_mad_i32_i24 v32, 0xffffffe8, v24, v2
	v_lshl_add_u32 v33, v25, 3, 0
	v_lshrrev_b32_e32 v35, 2, v38
	v_mul_u32_u24_e32 v53, 10, v38
	v_lshlrev_b32_e32 v0, 3, v0
	s_clause 0x4
	global_load_b128 v[16:19], v0, s[8:9]
	global_load_b128 v[12:15], v0, s[8:9] offset:16
	global_load_b128 v[8:11], v0, s[8:9] offset:32
	;; [unrolled: 1-line block ×4, first 2 shown]
	ds_load_b64 v[30:31], v32
	ds_load_b64 v[28:29], v33
	ds_load_2addr_b64 v[0:3], v47 offset1:132
	ds_load_2addr_b64 v[24:27], v47 offset0:176 offset1:220
	ds_load_2addr_b64 v[41:44], v48 offset0:8 offset1:52
	;; [unrolled: 1-line block ×3, first 2 shown]
	ds_load_b64 v[45:46], v47 offset:3520
	v_mul_u32_u24_e32 v35, 44, v35
	v_lshlrev_b32_e32 v53, 3, v53
	global_wb scope:SCOPE_SE
	s_wait_loadcnt_dscnt 0x0
	s_barrier_signal -1
	s_barrier_wait -1
	v_or_b32_e32 v34, v35, v34
	global_inv scope:SCOPE_SE
	v_lshl_add_u32 v34, v34, 3, 0
	v_mul_f32_e32 v35, v17, v31
	v_dual_mul_f32 v17, v17, v30 :: v_dual_mul_f32 v58, v42, v11
	v_dual_mul_f32 v54, v19, v29 :: v_dual_mul_f32 v55, v13, v3
	;; [unrolled: 1-line block ×5, first 2 shown]
	v_fma_f32 v30, v16, v30, -v35
	v_mul_f32_e32 v57, v9, v27
	v_fmac_f32_e32 v17, v16, v31
	v_fmac_f32_e32 v13, v12, v3
	v_fma_f32 v3, v14, v24, -v56
	v_mul_f32_e32 v61, v52, v21
	v_mul_f32_e32 v23, v45, v23
	v_fma_f32 v16, v18, v28, -v54
	v_fma_f32 v2, v12, v2, -v55
	;; [unrolled: 1-line block ×3, first 2 shown]
	v_fmac_f32_e32 v19, v18, v29
	v_fma_f32 v18, v51, v20, -v61
	v_mul_f32_e32 v11, v41, v11
	v_fma_f32 v24, v45, v22, -v62
	v_mul_f32_e32 v9, v9, v26
	v_fmac_f32_e32 v23, v46, v22
	v_mul_f32_e32 v59, v44, v5
	v_dual_mul_f32 v5, v43, v5 :: v_dual_sub_f32 v28, v16, v18
	v_fmac_f32_e32 v15, v14, v25
	v_dual_sub_f32 v25, v30, v24 :: v_dual_add_f32 v26, v16, v18
	v_fmac_f32_e32 v11, v42, v10
	v_mul_f32_e32 v21, v51, v21
	s_delay_alu instid0(VALU_DEP_3) | instskip(SKIP_2) | instid1(VALU_DEP_4)
	v_dual_fmac_f32 v5, v44, v4 :: v_dual_mul_f32 v56, 0xbf7d64f0, v25
	v_add_f32_e32 v22, v17, v23
	v_mul_f32_e32 v62, 0xbf4178ce, v28
	v_fmac_f32_e32 v21, v52, v20
	v_dual_add_f32 v20, v30, v24 :: v_dual_fmac_f32 v9, v8, v27
	v_fma_f32 v8, v41, v10, -v58
	v_fma_f32 v10, v43, v4, -v59
	;; [unrolled: 1-line block ×3, first 2 shown]
	v_dual_mul_f32 v7, v49, v7 :: v_dual_mul_f32 v60, 0xbf68dda4, v28
	v_mul_f32_e32 v64, 0x3e903f40, v28
	s_delay_alu instid0(VALU_DEP_3) | instskip(SKIP_3) | instid1(VALU_DEP_4)
	v_dual_sub_f32 v44, v3, v10 :: v_dual_sub_f32 v35, v2, v4
	v_mul_f32_e32 v66, 0x3f7d64f0, v28
	v_add_f32_e32 v42, v3, v10
	v_mul_f32_e32 v28, 0x3f0a6770, v28
	v_mul_f32_e32 v80, 0x3f7d64f0, v44
	v_dual_mul_f32 v68, 0xbf7d64f0, v35 :: v_dual_fmac_f32 v7, v50, v6
	v_mul_f32_e32 v54, 0xbf68dda4, v25
	v_add_f32_e32 v6, v30, v0
	v_sub_f32_e32 v50, v12, v8
	v_add_f32_e32 v30, v2, v4
	v_mul_f32_e32 v58, 0xbf4178ce, v25
	s_delay_alu instid0(VALU_DEP_4)
	v_dual_add_f32 v27, v19, v21 :: v_dual_add_f32 v6, v6, v16
	v_add_f32_e32 v14, v17, v1
	v_sub_f32_e32 v17, v17, v23
	v_sub_f32_e32 v41, v13, v7
	;; [unrolled: 1-line block ×3, first 2 shown]
	v_add_f32_e32 v31, v13, v7
	v_dual_add_f32 v14, v14, v19 :: v_dual_sub_f32 v43, v15, v5
	v_mul_f32_e32 v16, 0xbf0a6770, v17
	v_dual_mul_f32 v19, 0xbf0a6770, v25 :: v_dual_add_f32 v2, v6, v2
	v_mul_f32_e32 v52, 0xbf68dda4, v17
	v_dual_sub_f32 v46, v9, v11 :: v_dual_mul_f32 v55, 0xbf7d64f0, v17
	v_mul_f32_e32 v71, 0x3f68dda4, v41
	v_dual_mul_f32 v76, 0x3f7d64f0, v43 :: v_dual_add_f32 v45, v15, v5
	v_dual_mul_f32 v72, 0x3f68dda4, v35 :: v_dual_add_f32 v49, v12, v8
	v_mul_f32_e32 v74, 0xbf0a6770, v35
	v_mul_f32_e32 v70, 0x3e903f40, v35
	v_dual_mul_f32 v35, 0xbf4178ce, v35 :: v_dual_add_f32 v6, v14, v13
	v_fma_f32 v13, 0x3f575c64, v20, -v16
	v_fmac_f32_e32 v16, 0x3f575c64, v20
	v_mul_f32_e32 v57, 0xbf4178ce, v17
	v_dual_mul_f32 v17, 0xbe903f40, v17 :: v_dual_mul_f32 v78, 0xbe903f40, v43
	v_dual_add_f32 v51, v9, v11 :: v_dual_mul_f32 v82, 0xbe903f40, v44
	v_fma_f32 v91, 0x3ed4b147, v20, -v52
	v_fmamk_f32 v14, v22, 0x3f575c64, v19
	v_fma_f32 v19, 0x3f575c64, v22, -v19
	v_fmamk_f32 v94, v22, 0xbe11bafb, v56
	v_fma_f32 v56, 0xbe11bafb, v22, -v56
	v_mul_f32_e32 v79, 0xbf4178ce, v44
	v_fma_f32 v97, 0xbf75a155, v20, -v17
	v_dual_mul_f32 v63, 0x3e903f40, v29 :: v_dual_add_f32 v16, v16, v0
	v_fma_f32 v95, 0xbf27a4f4, v20, -v57
	v_mul_f32_e32 v61, 0xbf4178ce, v29
	v_dual_fmamk_f32 v96, v22, 0xbf27a4f4, v58 :: v_dual_fmac_f32 v57, 0xbf27a4f4, v20
	v_fma_f32 v58, 0xbf27a4f4, v22, -v58
	v_mul_f32_e32 v81, 0xbf0a6770, v44
	v_mul_f32_e32 v44, 0x3f68dda4, v44
	v_fmac_f32_e32 v52, 0x3ed4b147, v20
	v_fma_f32 v109, 0x3ed4b147, v30, -v71
	v_fmac_f32_e32 v71, 0x3ed4b147, v30
	v_mul_f32_e32 v25, 0xbe903f40, v25
	v_dual_mul_f32 v65, 0x3f7d64f0, v29 :: v_dual_add_f32 v2, v2, v3
	v_mul_f32_e32 v67, 0xbf7d64f0, v41
	v_mul_f32_e32 v73, 0xbf0a6770, v41
	v_dual_mul_f32 v75, 0xbf4178ce, v43 :: v_dual_add_f32 v14, v14, v1
	v_dual_mul_f32 v84, 0x3f0a6770, v46 :: v_dual_add_f32 v13, v13, v0
	v_mul_f32_e32 v86, 0x3f68dda4, v46
	v_mul_f32_e32 v88, 0x3f0a6770, v50
	v_dual_mul_f32 v90, 0x3f68dda4, v50 :: v_dual_add_f32 v19, v19, v1
	v_mul_f32_e32 v85, 0xbf4178ce, v46
	v_fmamk_f32 v92, v22, 0x3ed4b147, v54
	v_fma_f32 v54, 0x3ed4b147, v22, -v54
	v_mul_f32_e32 v77, 0xbf0a6770, v43
	v_mul_f32_e32 v43, 0x3f68dda4, v43
	v_dual_fmac_f32 v17, 0xbf75a155, v20 :: v_dual_fmamk_f32 v102, v27, 0xbf75a155, v64
	v_mul_f32_e32 v69, 0x3e903f40, v41
	v_fma_f32 v99, 0xbf27a4f4, v26, -v61
	v_dual_fmamk_f32 v100, v27, 0xbf27a4f4, v62 :: v_dual_fmac_f32 v61, 0xbf27a4f4, v26
	v_mul_f32_e32 v87, 0xbe903f40, v50
	v_fma_f32 v101, 0xbf75a155, v26, -v63
	v_mul_f32_e32 v89, 0xbf4178ce, v50
	v_mul_f32_e32 v50, 0xbf7d64f0, v50
	v_add_f32_e32 v52, v52, v0
	v_fmamk_f32 v98, v22, 0xbf75a155, v25
	v_mul_f32_e32 v83, 0xbe903f40, v46
	v_mul_f32_e32 v46, 0xbf7d64f0, v46
	v_fma_f32 v93, 0xbe11bafb, v20, -v55
	v_mul_f32_e32 v59, 0xbf68dda4, v29
	v_mul_f32_e32 v29, 0x3f0a6770, v29
	v_fmac_f32_e32 v55, 0xbe11bafb, v20
	v_fma_f32 v20, 0xbf75a155, v22, -v25
	v_fmamk_f32 v25, v27, 0x3ed4b147, v60
	v_mul_f32_e32 v41, 0xbf4178ce, v41
	v_fma_f32 v60, 0x3ed4b147, v27, -v60
	v_fma_f32 v22, 0x3ed4b147, v26, -v59
	v_fmac_f32_e32 v59, 0x3ed4b147, v26
	v_fma_f32 v62, 0xbf27a4f4, v27, -v62
	v_dual_fmac_f32 v63, 0xbf75a155, v26 :: v_dual_fmamk_f32 v108, v31, 0xbf75a155, v70
	v_fma_f32 v64, 0xbf75a155, v27, -v64
	v_fma_f32 v103, 0xbe11bafb, v26, -v65
	v_dual_fmamk_f32 v104, v27, 0xbe11bafb, v66 :: v_dual_fmac_f32 v65, 0xbe11bafb, v26
	v_fma_f32 v66, 0xbe11bafb, v27, -v66
	v_fma_f32 v105, 0x3f575c64, v26, -v29
	v_fmac_f32_e32 v29, 0x3f575c64, v26
	v_fma_f32 v26, 0x3f575c64, v27, -v28
	v_fma_f32 v107, 0xbf75a155, v30, -v69
	v_dual_fmac_f32 v69, 0xbf75a155, v30 :: v_dual_fmamk_f32 v120, v45, 0xbf75a155, v82
	v_fma_f32 v70, 0xbf75a155, v31, -v70
	v_fmamk_f32 v110, v31, 0x3ed4b147, v72
	v_fma_f32 v72, 0x3ed4b147, v31, -v72
	v_fmamk_f32 v114, v31, 0xbf27a4f4, v35
	v_fma_f32 v116, 0xbf75a155, v42, -v78
	v_fma_f32 v117, 0x3ed4b147, v42, -v43
	v_fmac_f32_e32 v43, 0x3ed4b147, v42
	v_dual_fmamk_f32 v118, v45, 0xbe11bafb, v80 :: v_dual_add_f32 v3, v6, v15
	v_fma_f32 v80, 0xbe11bafb, v45, -v80
	v_fma_f32 v82, 0xbf75a155, v45, -v82
	v_fmamk_f32 v121, v45, 0x3ed4b147, v44
	v_fma_f32 v44, 0x3ed4b147, v45, -v44
	v_fma_f32 v122, 0x3f575c64, v49, -v84
	v_fmac_f32_e32 v84, 0x3f575c64, v49
	v_fma_f32 v124, 0x3ed4b147, v49, -v86
	v_dual_fmac_f32 v86, 0x3ed4b147, v49 :: v_dual_add_f32 v57, v57, v0
	v_fma_f32 v125, 0xbe11bafb, v49, -v46
	v_fmac_f32_e32 v46, 0xbe11bafb, v49
	v_fmamk_f32 v126, v51, 0x3f575c64, v88
	v_fma_f32 v88, 0x3f575c64, v51, -v88
	v_fmamk_f32 v128, v51, 0x3ed4b147, v90
	v_fma_f32 v90, 0x3ed4b147, v51, -v90
	v_add_f32_e32 v54, v54, v1
	v_fmamk_f32 v112, v31, 0x3f575c64, v74
	v_fma_f32 v74, 0x3f575c64, v31, -v74
	v_fma_f32 v115, 0x3f575c64, v42, -v77
	v_dual_fmac_f32 v77, 0x3f575c64, v42 :: v_dual_add_f32 v56, v56, v1
	v_dual_add_f32 v58, v58, v1 :: v_dual_fmamk_f32 v119, v45, 0x3f575c64, v81
	v_fma_f32 v81, 0x3f575c64, v45, -v81
	v_add_f32_e32 v6, v98, v1
	v_fmac_f32_e32 v78, 0xbf75a155, v42
	v_add_f32_e32 v2, v2, v12
	v_fmamk_f32 v106, v27, 0x3f575c64, v28
	v_fma_f32 v27, 0xbe11bafb, v30, -v67
	v_dual_fmamk_f32 v28, v31, 0xbe11bafb, v68 :: v_dual_fmac_f32 v67, 0xbe11bafb, v30
	v_fma_f32 v68, 0xbe11bafb, v31, -v68
	v_fma_f32 v111, 0x3f575c64, v30, -v73
	v_fmac_f32_e32 v73, 0x3f575c64, v30
	v_dual_fmamk_f32 v127, v51, 0xbf27a4f4, v89 :: v_dual_add_f32 v2, v2, v8
	v_fma_f32 v89, 0xbf27a4f4, v51, -v89
	v_add_f32_e32 v12, v25, v14
	v_fma_f32 v113, 0xbf27a4f4, v30, -v41
	v_fmac_f32_e32 v41, 0xbf27a4f4, v30
	v_fma_f32 v30, 0xbf27a4f4, v31, -v35
	v_fma_f32 v31, 0xbf27a4f4, v42, -v75
	v_fmac_f32_e32 v75, 0xbf27a4f4, v42
	v_fma_f32 v35, 0xbe11bafb, v42, -v76
	v_dual_fmac_f32 v76, 0xbe11bafb, v42 :: v_dual_add_f32 v55, v55, v0
	v_fmamk_f32 v42, v45, 0xbf27a4f4, v79
	v_fma_f32 v79, 0xbf27a4f4, v45, -v79
	v_fma_f32 v45, 0xbf75a155, v49, -v83
	v_dual_fmac_f32 v83, 0xbf75a155, v49 :: v_dual_add_f32 v14, v60, v19
	v_fma_f32 v123, 0xbf27a4f4, v49, -v85
	v_fmac_f32_e32 v85, 0xbf27a4f4, v49
	v_dual_fmamk_f32 v49, v51, 0xbf75a155, v87 :: v_dual_add_f32 v6, v106, v6
	v_fma_f32 v87, 0xbf75a155, v51, -v87
	v_fmamk_f32 v129, v51, 0xbe11bafb, v50
	v_fma_f32 v50, 0xbe11bafb, v51, -v50
	v_add_f32_e32 v51, v91, v0
	v_dual_add_f32 v91, v92, v1 :: v_dual_add_f32 v92, v93, v0
	v_dual_add_f32 v93, v94, v1 :: v_dual_add_f32 v94, v95, v0
	;; [unrolled: 1-line block ×4, first 2 shown]
	v_add_f32_e32 v3, v3, v9
	v_add_f32_e32 v9, v22, v13
	v_dual_add_f32 v13, v59, v16 :: v_dual_add_f32 v16, v100, v91
	v_add_f32_e32 v17, v61, v52
	v_add_f32_e32 v20, v101, v92
	s_delay_alu instid0(VALU_DEP_4)
	v_add_f32_e32 v8, v27, v9
	v_add_f32_e32 v25, v63, v55
	v_dual_add_f32 v19, v62, v54 :: v_dual_add_f32 v54, v104, v95
	v_add_f32_e32 v15, v99, v51
	v_dual_add_f32 v51, v64, v56 :: v_dual_add_f32 v56, v66, v58
	v_dual_add_f32 v0, v29, v0 :: v_dual_add_f32 v1, v26, v1
	v_add_f32_e32 v9, v28, v12
	v_add_f32_e32 v12, v68, v14
	;; [unrolled: 1-line block ×5, first 2 shown]
	v_dual_add_f32 v3, v3, v11 :: v_dual_add_f32 v2, v2, v10
	v_dual_add_f32 v11, v67, v13 :: v_dual_add_f32 v26, v112, v54
	v_add_f32_e32 v28, v74, v56
	v_dual_add_f32 v0, v41, v0 :: v_dual_add_f32 v1, v30, v1
	v_add_f32_e32 v10, v79, v12
	;; [unrolled: 2-line block ×3, first 2 shown]
	v_dual_add_f32 v17, v109, v20 :: v_dual_add_f32 v20, v71, v25
	v_dual_add_f32 v16, v70, v19 :: v_dual_add_f32 v55, v65, v57
	;; [unrolled: 1-line block ×5, first 2 shown]
	s_delay_alu instid0(VALU_DEP_4)
	v_add_f32_e32 v27, v73, v55
	v_add_f32_e32 v3, v3, v5
	v_dual_add_f32 v5, v31, v8 :: v_dual_add_f32 v8, v42, v9
	v_dual_add_f32 v14, v80, v16 :: v_dual_add_f32 v9, v75, v11
	v_add_f32_e32 v11, v35, v13
	v_dual_add_f32 v29, v113, v57 :: v_dual_add_f32 v16, v119, v19
	v_add_f32_e32 v13, v76, v15
	v_add_f32_e32 v15, v115, v17
	;; [unrolled: 1-line block ×7, first 2 shown]
	v_dual_add_f32 v25, v78, v27 :: v_dual_add_f32 v28, v121, v6
	v_add_f32_e32 v31, v2, v4
	v_dual_add_f32 v4, v122, v11 :: v_dual_add_f32 v27, v117, v29
	v_add_f32_e32 v29, v43, v0
	v_add_f32_e32 v35, v3, v7
	v_dual_add_f32 v1, v49, v8 :: v_dual_add_f32 v6, v84, v13
	v_add_f32_e32 v0, v45, v5
	v_dual_add_f32 v2, v83, v9 :: v_dual_add_f32 v5, v126, v12
	v_add_f32_e32 v9, v127, v16
	v_add_f32_e32 v12, v124, v20
	;; [unrolled: 1-line block ×7, first 2 shown]
	v_dual_add_f32 v3, v87, v10 :: v_dual_add_f32 v10, v85, v17
	v_add_f32_e32 v13, v128, v22
	v_add_f32_e32 v17, v129, v28
	v_dual_add_f32 v7, v88, v14 :: v_dual_add_f32 v14, v86, v25
	v_add_f32_e32 v11, v89, v19
	v_add_f32_e32 v15, v90, v26
	;; [unrolled: 1-line block ×3, first 2 shown]
	ds_store_2addr_b64 v34, v[4:5], v[8:9] offset0:8 offset1:12
	v_dual_add_f32 v4, v20, v24 :: v_dual_add_f32 v5, v21, v23
	ds_store_2addr_b64 v34, v[12:13], v[16:17] offset0:16 offset1:20
	ds_store_2addr_b64 v34, v[18:19], v[14:15] offset0:24 offset1:28
	;; [unrolled: 1-line block ×3, first 2 shown]
	ds_store_b64 v34, v[2:3] offset:320
	ds_store_2addr_b64 v34, v[4:5], v[0:1] offset1:4
	global_wb scope:SCOPE_SE
	s_wait_dscnt 0x0
	s_barrier_signal -1
	s_barrier_wait -1
	global_inv scope:SCOPE_SE
	s_clause 0x4
	global_load_b128 v[16:19], v53, s[8:9] offset:320
	global_load_b128 v[12:15], v53, s[8:9] offset:336
	;; [unrolled: 1-line block ×5, first 2 shown]
	ds_load_b64 v[45:46], v32
	ds_load_b64 v[43:44], v33
	ds_load_2addr_b64 v[0:3], v47 offset1:132
	ds_load_2addr_b64 v[32:35], v47 offset0:176 offset1:220
	ds_load_2addr_b64 v[28:31], v48 offset0:8 offset1:52
	;; [unrolled: 1-line block ×3, first 2 shown]
	ds_load_b64 v[41:42], v47 offset:3520
	global_wb scope:SCOPE_SE
	s_wait_loadcnt_dscnt 0x0
	s_barrier_signal -1
	s_barrier_wait -1
	global_inv scope:SCOPE_SE
	v_dual_mul_f32 v50, v19, v44 :: v_dual_mul_f32 v51, v13, v3
	v_dual_mul_f32 v13, v13, v2 :: v_dual_mul_f32 v52, v15, v33
	v_mul_f32_e32 v53, v9, v35
	v_mul_f32_e32 v9, v9, v34
	;; [unrolled: 1-line block ×5, first 2 shown]
	v_dual_mul_f32 v5, v30, v5 :: v_dual_mul_f32 v56, v25, v7
	v_mul_f32_e32 v57, v27, v21
	v_fma_f32 v2, v12, v2, -v51
	v_fmac_f32_e32 v13, v12, v3
	v_fma_f32 v3, v14, v32, -v52
	v_fma_f32 v12, v8, v34, -v53
	v_fmac_f32_e32 v9, v8, v35
	v_fma_f32 v8, v28, v10, -v54
	v_mul_f32_e32 v19, v19, v43
	v_fmac_f32_e32 v11, v29, v10
	v_fma_f32 v10, v30, v4, -v55
	v_fmac_f32_e32 v5, v31, v4
	v_fma_f32 v4, v24, v6, -v56
	v_mul_f32_e32 v49, v17, v46
	s_delay_alu instid0(VALU_DEP_4)
	v_dual_mul_f32 v17, v17, v45 :: v_dual_add_f32 v34, v3, v10
	v_dual_mul_f32 v15, v15, v32 :: v_dual_mul_f32 v58, v42, v23
	v_fmac_f32_e32 v19, v18, v44
	v_sub_f32_e32 v32, v2, v4
	v_fma_f32 v45, v16, v45, -v49
	v_fmac_f32_e32 v17, v16, v46
	v_fma_f32 v16, v18, v43, -v50
	v_fma_f32 v18, v26, v20, -v57
	v_dual_mul_f32 v64, 0xbf7d64f0, v32 :: v_dual_mul_f32 v7, v24, v7
	v_fma_f32 v24, v41, v22, -v58
	v_mul_f32_e32 v66, 0x3e903f40, v32
	s_delay_alu instid0(VALU_DEP_4) | instskip(SKIP_3) | instid1(VALU_DEP_4)
	v_dual_sub_f32 v28, v16, v18 :: v_dual_mul_f32 v21, v26, v21
	v_dual_mul_f32 v23, v41, v23 :: v_dual_mul_f32 v68, 0x3f68dda4, v32
	v_mul_f32_e32 v70, 0xbf0a6770, v32
	v_dual_add_f32 v46, v9, v11 :: v_dual_fmac_f32 v15, v14, v33
	v_mul_f32_e32 v56, 0xbf68dda4, v28
	v_mul_f32_e32 v58, 0xbf4178ce, v28
	v_mul_f32_e32 v60, 0x3e903f40, v28
	v_mul_f32_e32 v62, 0x3f7d64f0, v28
	v_mul_f32_e32 v28, 0x3f0a6770, v28
	v_dual_mul_f32 v32, 0xbf4178ce, v32 :: v_dual_sub_f32 v43, v9, v11
	v_fmac_f32_e32 v21, v27, v20
	v_dual_add_f32 v20, v45, v24 :: v_dual_sub_f32 v35, v3, v10
	v_fmac_f32_e32 v7, v25, v6
	v_fmac_f32_e32 v23, v42, v22
	v_dual_sub_f32 v25, v45, v24 :: v_dual_mul_f32 v82, 0x3f68dda4, v43
	s_delay_alu instid0(VALU_DEP_4) | instskip(SKIP_1) | instid1(VALU_DEP_4)
	v_mul_f32_e32 v78, 0xbe903f40, v35
	v_add_f32_e32 v6, v45, v0
	v_add_f32_e32 v22, v17, v23
	s_delay_alu instid0(VALU_DEP_4) | instskip(SKIP_2) | instid1(VALU_DEP_3)
	v_mul_f32_e32 v54, 0xbf4178ce, v25
	v_dual_add_f32 v14, v17, v1 :: v_dual_sub_f32 v45, v12, v8
	v_mul_f32_e32 v50, 0xbf68dda4, v25
	v_dual_sub_f32 v41, v15, v5 :: v_dual_fmamk_f32 v92, v22, 0xbf27a4f4, v54
	s_delay_alu instid0(VALU_DEP_3) | instskip(SKIP_3) | instid1(VALU_DEP_4)
	v_dual_sub_f32 v17, v17, v23 :: v_dual_mul_f32 v84, 0x3f0a6770, v45
	v_add_f32_e32 v26, v16, v18
	v_add_f32_e32 v6, v6, v16
	v_mul_f32_e32 v52, 0xbf7d64f0, v25
	v_mul_f32_e32 v16, 0xbf0a6770, v17
	v_fmamk_f32 v88, v22, 0x3ed4b147, v50
	v_mul_f32_e32 v72, 0x3f7d64f0, v41
	v_add_f32_e32 v14, v14, v19
	v_dual_add_f32 v30, v2, v4 :: v_dual_mul_f32 v51, 0xbf7d64f0, v17
	v_mul_f32_e32 v76, 0x3f7d64f0, v35
	v_dual_add_f32 v31, v13, v7 :: v_dual_mul_f32 v86, 0x3f68dda4, v45
	v_dual_sub_f32 v33, v13, v7 :: v_dual_add_f32 v2, v6, v2
	v_add_f32_e32 v6, v14, v13
	v_fma_f32 v13, 0x3f575c64, v20, -v16
	v_fmac_f32_e32 v16, 0x3f575c64, v20
	v_fmamk_f32 v90, v22, 0xbe11bafb, v52
	v_dual_mul_f32 v80, 0x3f0a6770, v43 :: v_dual_add_f32 v27, v19, v21
	v_sub_f32_e32 v29, v19, v21
	s_delay_alu instid0(VALU_DEP_4)
	v_dual_mul_f32 v19, 0xbf0a6770, v25 :: v_dual_add_f32 v16, v16, v0
	v_fma_f32 v54, 0xbf27a4f4, v22, -v54
	v_mul_f32_e32 v49, 0xbf68dda4, v17
	v_mul_f32_e32 v53, 0xbf4178ce, v17
	;; [unrolled: 1-line block ×3, first 2 shown]
	v_dual_mul_f32 v25, 0xbe903f40, v25 :: v_dual_add_f32 v2, v2, v3
	v_dual_mul_f32 v79, 0xbe903f40, v43 :: v_dual_add_f32 v54, v54, v1
	v_fmamk_f32 v14, v22, 0x3f575c64, v19
	v_fma_f32 v89, 0xbe11bafb, v20, -v51
	v_dual_fmac_f32 v51, 0xbe11bafb, v20 :: v_dual_fmamk_f32 v100, v27, 0xbe11bafb, v62
	v_fma_f32 v62, 0xbe11bafb, v27, -v62
	v_mul_f32_e32 v69, 0xbf0a6770, v33
	v_mul_f32_e32 v74, 0xbe903f40, v41
	v_dual_mul_f32 v75, 0xbf4178ce, v35 :: v_dual_add_f32 v14, v14, v1
	v_fma_f32 v19, 0x3f575c64, v22, -v19
	v_fma_f32 v87, 0x3ed4b147, v20, -v49
	v_dual_fmac_f32 v49, 0x3ed4b147, v20 :: v_dual_fmamk_f32 v106, v31, 0x3ed4b147, v68
	v_fma_f32 v91, 0xbf27a4f4, v20, -v53
	v_dual_fmac_f32 v53, 0xbf27a4f4, v20 :: v_dual_fmamk_f32 v96, v27, 0xbf27a4f4, v58
	v_fma_f32 v93, 0xbf75a155, v20, -v17
	v_dual_fmamk_f32 v94, v22, 0xbf75a155, v25 :: v_dual_add_f32 v13, v13, v0
	v_dual_fmac_f32 v17, 0xbf75a155, v20 :: v_dual_fmamk_f32 v98, v27, 0xbf75a155, v60
	v_mul_f32_e32 v55, 0xbf68dda4, v29
	v_fma_f32 v20, 0xbf75a155, v22, -v25
	v_fma_f32 v107, 0x3f575c64, v30, -v69
	v_dual_fmamk_f32 v108, v31, 0x3f575c64, v70 :: v_dual_fmac_f32 v69, 0x3f575c64, v30
	v_fmamk_f32 v25, v27, 0x3ed4b147, v56
	v_dual_mul_f32 v59, 0x3e903f40, v29 :: v_dual_add_f32 v44, v12, v8
	v_dual_mul_f32 v57, 0xbf4178ce, v29 :: v_dual_add_f32 v2, v2, v12
	v_fma_f32 v50, 0x3ed4b147, v22, -v50
	v_fma_f32 v52, 0xbe11bafb, v22, -v52
	;; [unrolled: 1-line block ×5, first 2 shown]
	v_dual_fmamk_f32 v122, v46, 0x3f575c64, v84 :: v_dual_add_f32 v19, v19, v1
	v_mul_f32_e32 v61, 0x3f7d64f0, v29
	v_mul_f32_e32 v29, 0x3f0a6770, v29
	v_dual_add_f32 v3, v6, v15 :: v_dual_add_f32 v12, v25, v14
	v_fma_f32 v97, 0xbf75a155, v26, -v59
	v_mul_f32_e32 v63, 0xbf7d64f0, v33
	v_add_f32_e32 v42, v15, v5
	v_mul_f32_e32 v67, 0x3f68dda4, v33
	v_dual_mul_f32 v73, 0xbf0a6770, v41 :: v_dual_add_f32 v2, v2, v8
	v_dual_mul_f32 v77, 0xbf0a6770, v35 :: v_dual_add_f32 v50, v50, v1
	;; [unrolled: 1-line block ×4, first 2 shown]
	v_fmac_f32_e32 v55, 0x3ed4b147, v26
	v_fma_f32 v95, 0xbf27a4f4, v26, -v57
	v_fmac_f32_e32 v57, 0xbf27a4f4, v26
	v_fma_f32 v58, 0xbf27a4f4, v27, -v58
	v_dual_fmac_f32 v59, 0xbf75a155, v26 :: v_dual_fmamk_f32 v104, v31, 0xbf75a155, v66
	v_fma_f32 v60, 0xbf75a155, v27, -v60
	v_mul_f32_e32 v65, 0x3e903f40, v33
	v_fma_f32 v101, 0x3f575c64, v26, -v29
	v_dual_fmamk_f32 v102, v27, 0x3f575c64, v28 :: v_dual_fmac_f32 v29, 0x3f575c64, v26
	v_mul_f32_e32 v33, 0xbf4178ce, v33
	v_mul_f32_e32 v71, 0xbf4178ce, v41
	v_dual_add_f32 v51, v51, v0 :: v_dual_add_f32 v2, v2, v10
	v_add_f32_e32 v3, v3, v9
	v_dual_add_f32 v9, v22, v13 :: v_dual_add_f32 v14, v56, v19
	v_fma_f32 v99, 0xbe11bafb, v26, -v61
	v_fmac_f32_e32 v61, 0xbe11bafb, v26
	v_fma_f32 v26, 0x3f575c64, v27, -v28
	v_fmamk_f32 v28, v31, 0xbe11bafb, v64
	v_fma_f32 v27, 0xbe11bafb, v30, -v63
	v_fma_f32 v64, 0xbe11bafb, v31, -v64
	v_mul_f32_e32 v41, 0x3f68dda4, v41
	v_mul_f32_e32 v43, 0xbf7d64f0, v43
	;; [unrolled: 1-line block ×3, first 2 shown]
	v_dual_fmac_f32 v63, 0xbe11bafb, v30 :: v_dual_fmamk_f32 v114, v42, 0xbe11bafb, v76
	v_fma_f32 v103, 0xbf75a155, v30, -v65
	v_dual_fmac_f32 v65, 0xbf75a155, v30 :: v_dual_fmamk_f32 v116, v42, 0xbf75a155, v78
	v_fma_f32 v66, 0xbf75a155, v31, -v66
	v_fma_f32 v105, 0x3ed4b147, v30, -v67
	v_dual_fmac_f32 v67, 0x3ed4b147, v30 :: v_dual_fmamk_f32 v124, v46, 0x3ed4b147, v86
	v_fma_f32 v68, 0x3ed4b147, v31, -v68
	v_fma_f32 v70, 0x3f575c64, v31, -v70
	;; [unrolled: 1-line block ×3, first 2 shown]
	v_fmac_f32_e32 v72, 0xbe11bafb, v34
	v_fma_f32 v111, 0x3f575c64, v34, -v73
	v_fmac_f32_e32 v73, 0x3f575c64, v34
	v_fmac_f32_e32 v74, 0xbf75a155, v34
	v_fma_f32 v118, 0x3f575c64, v44, -v80
	v_dual_fmac_f32 v80, 0x3f575c64, v44 :: v_dual_add_f32 v25, v59, v51
	v_add_f32_e32 v6, v102, v6
	v_fma_f32 v109, 0xbf27a4f4, v30, -v33
	v_dual_fmac_f32 v33, 0xbf27a4f4, v30 :: v_dual_add_f32 v8, v27, v9
	v_fmamk_f32 v30, v31, 0xbf27a4f4, v32
	v_fma_f32 v31, 0xbf27a4f4, v31, -v32
	v_fma_f32 v32, 0xbf27a4f4, v34, -v71
	v_fmac_f32_e32 v71, 0xbf27a4f4, v34
	v_add_f32_e32 v9, v28, v12
	v_add_f32_e32 v12, v64, v14
	v_fma_f32 v113, 0x3ed4b147, v34, -v41
	v_fmac_f32_e32 v41, 0x3ed4b147, v34
	v_fmamk_f32 v34, v42, 0xbf27a4f4, v75
	v_fma_f32 v75, 0xbf27a4f4, v42, -v75
	v_fmamk_f32 v117, v42, 0x3ed4b147, v35
	v_fma_f32 v35, 0x3ed4b147, v42, -v35
	v_add_f32_e32 v19, v58, v50
	v_mul_f32_e32 v85, 0xbf4178ce, v45
	v_mul_f32_e32 v45, 0xbf7d64f0, v45
	v_fma_f32 v76, 0xbe11bafb, v42, -v76
	v_fmamk_f32 v115, v42, 0x3f575c64, v77
	v_fma_f32 v77, 0x3f575c64, v42, -v77
	v_fma_f32 v78, 0xbf75a155, v42, -v78
	;; [unrolled: 1-line block ×3, first 2 shown]
	v_fmac_f32_e32 v79, 0xbf75a155, v44
	v_fma_f32 v119, 0xbf27a4f4, v44, -v81
	v_dual_fmac_f32 v81, 0xbf27a4f4, v44 :: v_dual_add_f32 v6, v30, v6
	v_fma_f32 v120, 0x3ed4b147, v44, -v82
	v_fmac_f32_e32 v82, 0x3ed4b147, v44
	v_fma_f32 v121, 0xbe11bafb, v44, -v43
	v_fmac_f32_e32 v43, 0xbe11bafb, v44
	v_dual_fmamk_f32 v44, v46, 0xbf75a155, v83 :: v_dual_add_f32 v49, v49, v0
	v_fma_f32 v83, 0xbf75a155, v46, -v83
	v_fma_f32 v84, 0x3f575c64, v46, -v84
	v_fmamk_f32 v123, v46, 0xbf27a4f4, v85
	v_fma_f32 v85, 0xbf27a4f4, v46, -v85
	v_fma_f32 v86, 0x3ed4b147, v46, -v86
	v_fmamk_f32 v125, v46, 0xbe11bafb, v45
	v_fma_f32 v45, 0xbe11bafb, v46, -v45
	v_dual_add_f32 v46, v87, v0 :: v_dual_add_f32 v87, v88, v1
	v_add_f32_e32 v13, v55, v16
	v_dual_add_f32 v88, v89, v0 :: v_dual_add_f32 v89, v90, v1
	s_delay_alu instid0(VALU_DEP_3)
	v_dual_add_f32 v15, v95, v46 :: v_dual_add_f32 v16, v96, v87
	v_add_f32_e32 v46, v60, v52
	v_add_f32_e32 v52, v62, v54
	;; [unrolled: 1-line block ×5, first 2 shown]
	s_delay_alu instid0(VALU_DEP_4) | instskip(SKIP_3) | instid1(VALU_DEP_3)
	v_dual_add_f32 v91, v92, v1 :: v_dual_add_f32 v28, v70, v52
	v_dual_add_f32 v1, v20, v1 :: v_dual_add_f32 v92, v93, v0
	v_add_f32_e32 v0, v17, v0
	v_add_f32_e32 v22, v98, v89
	v_dual_add_f32 v10, v75, v12 :: v_dual_add_f32 v1, v26, v1
	v_add_f32_e32 v12, v114, v14
	v_dual_add_f32 v50, v100, v91 :: v_dual_add_f32 v17, v57, v49
	s_delay_alu instid0(VALU_DEP_3) | instskip(SKIP_1) | instid1(VALU_DEP_3)
	v_dual_add_f32 v20, v97, v88 :: v_dual_add_f32 v1, v31, v1
	v_add_f32_e32 v0, v29, v0
	v_dual_add_f32 v26, v108, v50 :: v_dual_add_f32 v31, v2, v4
	s_delay_alu instid0(VALU_DEP_3) | instskip(SKIP_4) | instid1(VALU_DEP_4)
	v_add_f32_e32 v30, v35, v1
	v_add_f32_e32 v16, v66, v19
	;; [unrolled: 1-line block ×6, first 2 shown]
	s_delay_alu instid0(VALU_DEP_3)
	v_dual_add_f32 v16, v115, v19 :: v_dual_add_f32 v19, v77, v22
	v_add_f32_e32 v22, v116, v26
	v_add_f32_e32 v26, v78, v28
	v_dual_add_f32 v28, v117, v6 :: v_dual_add_f32 v3, v3, v11
	v_add_f32_e32 v11, v63, v13
	v_add_f32_e32 v13, v103, v15
	;; [unrolled: 1-line block ×3, first 2 shown]
	v_dual_add_f32 v17, v105, v20 :: v_dual_add_f32 v20, v67, v25
	v_add_f32_e32 v3, v3, v5
	v_dual_add_f32 v5, v32, v8 :: v_dual_add_f32 v8, v34, v9
	v_add_f32_e32 v9, v71, v11
	v_add_f32_e32 v11, v110, v13
	;; [unrolled: 1-line block ×11, first 2 shown]
	v_dual_add_f32 v1, v44, v8 :: v_dual_add_f32 v4, v118, v11
	v_add_f32_e32 v8, v119, v15
	s_delay_alu instid0(VALU_DEP_3)
	v_dual_add_f32 v9, v123, v16 :: v_dual_add_f32 v20, v112, v25
	v_add_f32_e32 v51, v61, v53
	v_add_f32_e32 v53, v101, v92
	;; [unrolled: 1-line block ×12, first 2 shown]
	v_dual_add_f32 v29, v41, v0 :: v_dual_add_f32 v0, v42, v5
	v_add_f32_e32 v5, v122, v12
	v_add_f32_e32 v12, v120, v20
	;; [unrolled: 1-line block ×5, first 2 shown]
	v_dual_add_f32 v15, v86, v26 :: v_dual_add_f32 v18, v43, v29
	v_add_f32_e32 v19, v45, v30
	ds_store_2addr_b64 v47, v[4:5], v[8:9] offset0:88 offset1:132
	v_dual_add_f32 v4, v20, v24 :: v_dual_add_f32 v5, v21, v23
	ds_store_2addr_b64 v47, v[12:13], v[16:17] offset0:176 offset1:220
	ds_store_2addr_b64 v48, v[18:19], v[14:15] offset0:8 offset1:52
	;; [unrolled: 1-line block ×3, first 2 shown]
	ds_store_b64 v47, v[2:3] offset:3520
	ds_store_2addr_b64 v47, v[4:5], v[0:1] offset1:44
	global_wb scope:SCOPE_SE
	s_wait_dscnt 0x0
	s_barrier_signal -1
	s_barrier_wait -1
	global_inv scope:SCOPE_SE
	s_and_saveexec_b32 s0, vcc_lo
	s_cbranch_execz .LBB0_17
; %bb.16:
	v_mul_lo_u32 v0, s3, v39
	v_mul_lo_u32 v1, s2, v40
	v_mad_co_u64_u32 v[4:5], null, s2, v39, 0
	v_dual_mov_b32 v39, 0 :: v_dual_add_nc_u32 v10, 44, v38
	v_lshl_add_u32 v24, v38, 3, 0
	v_lshlrev_b64_e32 v[8:9], 3, v[36:37]
	s_delay_alu instid0(VALU_DEP_3)
	v_dual_mov_b32 v11, v39 :: v_dual_add_nc_u32 v12, 0x58, v38
	v_add3_u32 v5, v5, v1, v0
	ds_load_2addr_b64 v[0:3], v24 offset1:44
	v_lshlrev_b64_e32 v[16:17], 3, v[38:39]
	v_mov_b32_e32 v13, v39
	v_lshlrev_b64_e32 v[10:11], 3, v[10:11]
	v_lshlrev_b64_e32 v[14:15], 3, v[4:5]
	ds_load_2addr_b64 v[4:7], v24 offset0:88 offset1:132
	v_mov_b32_e32 v19, v39
	v_add_nc_u32_e32 v25, 0x800, v24
	v_add_nc_u32_e32 v18, 0xdc, v38
	v_add_co_u32 v14, vcc_lo, s6, v14
	s_wait_alu 0xfffd
	v_add_co_ci_u32_e32 v15, vcc_lo, s7, v15, vcc_lo
	s_delay_alu instid0(VALU_DEP_2) | instskip(SKIP_1) | instid1(VALU_DEP_2)
	v_add_co_u32 v28, vcc_lo, v14, v8
	s_wait_alu 0xfffd
	v_add_co_ci_u32_e32 v29, vcc_lo, v15, v9, vcc_lo
	v_dual_mov_b32 v15, v39 :: v_dual_add_nc_u32 v14, 0x84, v38
	v_lshlrev_b64_e32 v[8:9], 3, v[12:13]
	v_add_co_u32 v12, vcc_lo, v28, v16
	v_add_nc_u32_e32 v16, 0xb0, v38
	s_wait_alu 0xfffd
	v_add_co_ci_u32_e32 v13, vcc_lo, v29, v17, vcc_lo
	v_add_co_u32 v10, vcc_lo, v28, v10
	v_lshlrev_b64_e32 v[14:15], 3, v[14:15]
	s_wait_alu 0xfffd
	v_add_co_ci_u32_e32 v11, vcc_lo, v29, v11, vcc_lo
	v_add_co_u32 v8, vcc_lo, v28, v8
	s_wait_alu 0xfffd
	v_add_co_ci_u32_e32 v9, vcc_lo, v29, v9, vcc_lo
	v_mov_b32_e32 v17, v39
	v_add_co_u32 v14, vcc_lo, v28, v14
	s_wait_alu 0xfffd
	v_add_co_ci_u32_e32 v15, vcc_lo, v29, v15, vcc_lo
	s_wait_dscnt 0x1
	s_clause 0x1
	global_store_b64 v[12:13], v[0:1], off
	global_store_b64 v[10:11], v[2:3], off
	s_wait_dscnt 0x0
	s_clause 0x1
	global_store_b64 v[8:9], v[4:5], off
	global_store_b64 v[14:15], v[6:7], off
	v_lshlrev_b64_e32 v[4:5], 3, v[16:17]
	v_dual_mov_b32 v9, v39 :: v_dual_add_nc_u32 v8, 0x108, v38
	v_add_nc_u32_e32 v10, 0x134, v38
	v_lshlrev_b64_e32 v[6:7], 3, v[18:19]
	v_mov_b32_e32 v11, v39
	v_add_co_u32 v12, vcc_lo, v28, v4
	v_lshlrev_b64_e32 v[8:9], 3, v[8:9]
	s_wait_alu 0xfffd
	v_add_co_ci_u32_e32 v13, vcc_lo, v29, v5, vcc_lo
	v_add_co_u32 v14, vcc_lo, v28, v6
	s_wait_alu 0xfffd
	v_add_co_ci_u32_e32 v15, vcc_lo, v29, v7, vcc_lo
	v_add_co_u32 v16, vcc_lo, v28, v8
	s_wait_alu 0xfffd
	v_add_co_ci_u32_e32 v17, vcc_lo, v29, v9, vcc_lo
	v_lshlrev_b64_e32 v[8:9], 3, v[10:11]
	v_add_nc_u32_e32 v10, 0x160, v38
	ds_load_2addr_b64 v[0:3], v24 offset0:176 offset1:220
	ds_load_2addr_b64 v[4:7], v25 offset0:8 offset1:52
	v_add_nc_u32_e32 v18, 0x18c, v38
	v_add_nc_u32_e32 v38, 0x1b8, v38
	v_add_co_u32 v20, vcc_lo, v28, v8
	s_wait_alu 0xfffd
	v_add_co_ci_u32_e32 v21, vcc_lo, v29, v9, vcc_lo
	v_lshlrev_b64_e32 v[22:23], 3, v[10:11]
	ds_load_2addr_b64 v[8:11], v25 offset0:96 offset1:140
	ds_load_b64 v[24:25], v24 offset:3520
	v_lshlrev_b64_e32 v[18:19], 3, v[18:19]
	v_lshlrev_b64_e32 v[26:27], 3, v[38:39]
	v_add_co_u32 v22, vcc_lo, v28, v22
	s_wait_alu 0xfffd
	v_add_co_ci_u32_e32 v23, vcc_lo, v29, v23, vcc_lo
	s_delay_alu instid0(VALU_DEP_4)
	v_add_co_u32 v18, vcc_lo, v28, v18
	s_wait_alu 0xfffd
	v_add_co_ci_u32_e32 v19, vcc_lo, v29, v19, vcc_lo
	v_add_co_u32 v26, vcc_lo, v28, v26
	s_wait_alu 0xfffd
	v_add_co_ci_u32_e32 v27, vcc_lo, v29, v27, vcc_lo
	s_wait_dscnt 0x3
	s_clause 0x1
	global_store_b64 v[12:13], v[0:1], off
	global_store_b64 v[14:15], v[2:3], off
	s_wait_dscnt 0x2
	s_clause 0x1
	global_store_b64 v[16:17], v[4:5], off
	global_store_b64 v[20:21], v[6:7], off
	;; [unrolled: 4-line block ×3, first 2 shown]
	s_wait_dscnt 0x0
	global_store_b64 v[26:27], v[24:25], off
.LBB0_17:
	s_nop 0
	s_sendmsg sendmsg(MSG_DEALLOC_VGPRS)
	s_endpgm
	.section	.rodata,"a",@progbits
	.p2align	6, 0x0
	.amdhsa_kernel fft_rtc_fwd_len484_factors_4_11_11_wgs_44_tpt_44_sp_op_CI_CI_unitstride_sbrr_dirReg
		.amdhsa_group_segment_fixed_size 0
		.amdhsa_private_segment_fixed_size 0
		.amdhsa_kernarg_size 104
		.amdhsa_user_sgpr_count 2
		.amdhsa_user_sgpr_dispatch_ptr 0
		.amdhsa_user_sgpr_queue_ptr 0
		.amdhsa_user_sgpr_kernarg_segment_ptr 1
		.amdhsa_user_sgpr_dispatch_id 0
		.amdhsa_user_sgpr_private_segment_size 0
		.amdhsa_wavefront_size32 1
		.amdhsa_uses_dynamic_stack 0
		.amdhsa_enable_private_segment 0
		.amdhsa_system_sgpr_workgroup_id_x 1
		.amdhsa_system_sgpr_workgroup_id_y 0
		.amdhsa_system_sgpr_workgroup_id_z 0
		.amdhsa_system_sgpr_workgroup_info 0
		.amdhsa_system_vgpr_workitem_id 0
		.amdhsa_next_free_vgpr 130
		.amdhsa_next_free_sgpr 39
		.amdhsa_reserve_vcc 1
		.amdhsa_float_round_mode_32 0
		.amdhsa_float_round_mode_16_64 0
		.amdhsa_float_denorm_mode_32 3
		.amdhsa_float_denorm_mode_16_64 3
		.amdhsa_fp16_overflow 0
		.amdhsa_workgroup_processor_mode 1
		.amdhsa_memory_ordered 1
		.amdhsa_forward_progress 0
		.amdhsa_round_robin_scheduling 0
		.amdhsa_exception_fp_ieee_invalid_op 0
		.amdhsa_exception_fp_denorm_src 0
		.amdhsa_exception_fp_ieee_div_zero 0
		.amdhsa_exception_fp_ieee_overflow 0
		.amdhsa_exception_fp_ieee_underflow 0
		.amdhsa_exception_fp_ieee_inexact 0
		.amdhsa_exception_int_div_zero 0
	.end_amdhsa_kernel
	.text
.Lfunc_end0:
	.size	fft_rtc_fwd_len484_factors_4_11_11_wgs_44_tpt_44_sp_op_CI_CI_unitstride_sbrr_dirReg, .Lfunc_end0-fft_rtc_fwd_len484_factors_4_11_11_wgs_44_tpt_44_sp_op_CI_CI_unitstride_sbrr_dirReg
                                        ; -- End function
	.section	.AMDGPU.csdata,"",@progbits
; Kernel info:
; codeLenInByte = 7852
; NumSgprs: 41
; NumVgprs: 130
; ScratchSize: 0
; MemoryBound: 0
; FloatMode: 240
; IeeeMode: 1
; LDSByteSize: 0 bytes/workgroup (compile time only)
; SGPRBlocks: 5
; VGPRBlocks: 16
; NumSGPRsForWavesPerEU: 41
; NumVGPRsForWavesPerEU: 130
; Occupancy: 10
; WaveLimiterHint : 1
; COMPUTE_PGM_RSRC2:SCRATCH_EN: 0
; COMPUTE_PGM_RSRC2:USER_SGPR: 2
; COMPUTE_PGM_RSRC2:TRAP_HANDLER: 0
; COMPUTE_PGM_RSRC2:TGID_X_EN: 1
; COMPUTE_PGM_RSRC2:TGID_Y_EN: 0
; COMPUTE_PGM_RSRC2:TGID_Z_EN: 0
; COMPUTE_PGM_RSRC2:TIDIG_COMP_CNT: 0
	.text
	.p2alignl 7, 3214868480
	.fill 96, 4, 3214868480
	.type	__hip_cuid_2f4b6e8322c703f,@object ; @__hip_cuid_2f4b6e8322c703f
	.section	.bss,"aw",@nobits
	.globl	__hip_cuid_2f4b6e8322c703f
__hip_cuid_2f4b6e8322c703f:
	.byte	0                               ; 0x0
	.size	__hip_cuid_2f4b6e8322c703f, 1

	.ident	"AMD clang version 19.0.0git (https://github.com/RadeonOpenCompute/llvm-project roc-6.4.0 25133 c7fe45cf4b819c5991fe208aaa96edf142730f1d)"
	.section	".note.GNU-stack","",@progbits
	.addrsig
	.addrsig_sym __hip_cuid_2f4b6e8322c703f
	.amdgpu_metadata
---
amdhsa.kernels:
  - .args:
      - .actual_access:  read_only
        .address_space:  global
        .offset:         0
        .size:           8
        .value_kind:     global_buffer
      - .offset:         8
        .size:           8
        .value_kind:     by_value
      - .actual_access:  read_only
        .address_space:  global
        .offset:         16
        .size:           8
        .value_kind:     global_buffer
      - .actual_access:  read_only
        .address_space:  global
        .offset:         24
        .size:           8
        .value_kind:     global_buffer
      - .actual_access:  read_only
        .address_space:  global
        .offset:         32
        .size:           8
        .value_kind:     global_buffer
      - .offset:         40
        .size:           8
        .value_kind:     by_value
      - .actual_access:  read_only
        .address_space:  global
        .offset:         48
        .size:           8
        .value_kind:     global_buffer
      - .actual_access:  read_only
        .address_space:  global
        .offset:         56
        .size:           8
        .value_kind:     global_buffer
      - .offset:         64
        .size:           4
        .value_kind:     by_value
      - .actual_access:  read_only
        .address_space:  global
        .offset:         72
        .size:           8
        .value_kind:     global_buffer
      - .actual_access:  read_only
        .address_space:  global
        .offset:         80
        .size:           8
        .value_kind:     global_buffer
      - .actual_access:  read_only
        .address_space:  global
        .offset:         88
        .size:           8
        .value_kind:     global_buffer
      - .actual_access:  write_only
        .address_space:  global
        .offset:         96
        .size:           8
        .value_kind:     global_buffer
    .group_segment_fixed_size: 0
    .kernarg_segment_align: 8
    .kernarg_segment_size: 104
    .language:       OpenCL C
    .language_version:
      - 2
      - 0
    .max_flat_workgroup_size: 44
    .name:           fft_rtc_fwd_len484_factors_4_11_11_wgs_44_tpt_44_sp_op_CI_CI_unitstride_sbrr_dirReg
    .private_segment_fixed_size: 0
    .sgpr_count:     41
    .sgpr_spill_count: 0
    .symbol:         fft_rtc_fwd_len484_factors_4_11_11_wgs_44_tpt_44_sp_op_CI_CI_unitstride_sbrr_dirReg.kd
    .uniform_work_group_size: 1
    .uses_dynamic_stack: false
    .vgpr_count:     130
    .vgpr_spill_count: 0
    .wavefront_size: 32
    .workgroup_processor_mode: 1
amdhsa.target:   amdgcn-amd-amdhsa--gfx1201
amdhsa.version:
  - 1
  - 2
...

	.end_amdgpu_metadata
